;; amdgpu-corpus repo=ROCm/rocFFT kind=compiled arch=gfx1201 opt=O3
	.text
	.amdgcn_target "amdgcn-amd-amdhsa--gfx1201"
	.amdhsa_code_object_version 6
	.protected	fft_rtc_back_len432_factors_3_16_3_3_wgs_54_tpt_27_halfLds_sp_ip_CI_unitstride_sbrr_dirReg ; -- Begin function fft_rtc_back_len432_factors_3_16_3_3_wgs_54_tpt_27_halfLds_sp_ip_CI_unitstride_sbrr_dirReg
	.globl	fft_rtc_back_len432_factors_3_16_3_3_wgs_54_tpt_27_halfLds_sp_ip_CI_unitstride_sbrr_dirReg
	.p2align	8
	.type	fft_rtc_back_len432_factors_3_16_3_3_wgs_54_tpt_27_halfLds_sp_ip_CI_unitstride_sbrr_dirReg,@function
fft_rtc_back_len432_factors_3_16_3_3_wgs_54_tpt_27_halfLds_sp_ip_CI_unitstride_sbrr_dirReg: ; @fft_rtc_back_len432_factors_3_16_3_3_wgs_54_tpt_27_halfLds_sp_ip_CI_unitstride_sbrr_dirReg
; %bb.0:
	s_clause 0x2
	s_load_b128 s[4:7], s[0:1], 0x0
	s_load_b64 s[8:9], s[0:1], 0x50
	s_load_b64 s[10:11], s[0:1], 0x18
	v_mul_u32_u24_e32 v1, 0x97c, v0
	v_mov_b32_e32 v3, 0
	s_delay_alu instid0(VALU_DEP_2) | instskip(SKIP_2) | instid1(VALU_DEP_4)
	v_lshrrev_b32_e32 v12, 16, v1
	v_mov_b32_e32 v1, 0
	v_mov_b32_e32 v2, 0
	;; [unrolled: 1-line block ×3, first 2 shown]
	s_delay_alu instid0(VALU_DEP_4) | instskip(SKIP_2) | instid1(VALU_DEP_1)
	v_lshl_add_u32 v5, ttmp9, 1, v12
	s_wait_kmcnt 0x0
	v_cmp_lt_u64_e64 s2, s[6:7], 2
	s_and_b32 vcc_lo, exec_lo, s2
	s_cbranch_vccnz .LBB0_8
; %bb.1:
	s_load_b64 s[2:3], s[0:1], 0x10
	v_mov_b32_e32 v1, 0
	v_mov_b32_e32 v2, 0
	s_add_nc_u64 s[12:13], s[10:11], 8
	s_mov_b64 s[14:15], 1
	s_wait_kmcnt 0x0
	s_add_nc_u64 s[16:17], s[2:3], 8
	s_mov_b32 s3, 0
.LBB0_2:                                ; =>This Inner Loop Header: Depth=1
	s_load_b64 s[18:19], s[16:17], 0x0
                                        ; implicit-def: $vgpr7_vgpr8
	s_mov_b32 s2, exec_lo
	s_wait_kmcnt 0x0
	v_or_b32_e32 v4, s19, v6
	s_delay_alu instid0(VALU_DEP_1)
	v_cmpx_ne_u64_e32 0, v[3:4]
	s_wait_alu 0xfffe
	s_xor_b32 s20, exec_lo, s2
	s_cbranch_execz .LBB0_4
; %bb.3:                                ;   in Loop: Header=BB0_2 Depth=1
	s_cvt_f32_u32 s2, s18
	s_cvt_f32_u32 s21, s19
	s_sub_nc_u64 s[24:25], 0, s[18:19]
	s_wait_alu 0xfffe
	s_delay_alu instid0(SALU_CYCLE_1) | instskip(SKIP_1) | instid1(SALU_CYCLE_2)
	s_fmamk_f32 s2, s21, 0x4f800000, s2
	s_wait_alu 0xfffe
	v_s_rcp_f32 s2, s2
	s_delay_alu instid0(TRANS32_DEP_1) | instskip(SKIP_1) | instid1(SALU_CYCLE_2)
	s_mul_f32 s2, s2, 0x5f7ffffc
	s_wait_alu 0xfffe
	s_mul_f32 s21, s2, 0x2f800000
	s_wait_alu 0xfffe
	s_delay_alu instid0(SALU_CYCLE_2) | instskip(SKIP_1) | instid1(SALU_CYCLE_2)
	s_trunc_f32 s21, s21
	s_wait_alu 0xfffe
	s_fmamk_f32 s2, s21, 0xcf800000, s2
	s_cvt_u32_f32 s23, s21
	s_wait_alu 0xfffe
	s_delay_alu instid0(SALU_CYCLE_1) | instskip(SKIP_1) | instid1(SALU_CYCLE_2)
	s_cvt_u32_f32 s22, s2
	s_wait_alu 0xfffe
	s_mul_u64 s[26:27], s[24:25], s[22:23]
	s_wait_alu 0xfffe
	s_mul_hi_u32 s29, s22, s27
	s_mul_i32 s28, s22, s27
	s_mul_hi_u32 s2, s22, s26
	s_mul_i32 s30, s23, s26
	s_wait_alu 0xfffe
	s_add_nc_u64 s[28:29], s[2:3], s[28:29]
	s_mul_hi_u32 s21, s23, s26
	s_mul_hi_u32 s31, s23, s27
	s_add_co_u32 s2, s28, s30
	s_wait_alu 0xfffe
	s_add_co_ci_u32 s2, s29, s21
	s_mul_i32 s26, s23, s27
	s_add_co_ci_u32 s27, s31, 0
	s_wait_alu 0xfffe
	s_add_nc_u64 s[26:27], s[2:3], s[26:27]
	s_wait_alu 0xfffe
	v_add_co_u32 v4, s2, s22, s26
	s_delay_alu instid0(VALU_DEP_1) | instskip(SKIP_1) | instid1(VALU_DEP_1)
	s_cmp_lg_u32 s2, 0
	s_add_co_ci_u32 s23, s23, s27
	v_readfirstlane_b32 s22, v4
	s_wait_alu 0xfffe
	s_delay_alu instid0(VALU_DEP_1)
	s_mul_u64 s[24:25], s[24:25], s[22:23]
	s_wait_alu 0xfffe
	s_mul_hi_u32 s27, s22, s25
	s_mul_i32 s26, s22, s25
	s_mul_hi_u32 s2, s22, s24
	s_mul_i32 s28, s23, s24
	s_wait_alu 0xfffe
	s_add_nc_u64 s[26:27], s[2:3], s[26:27]
	s_mul_hi_u32 s21, s23, s24
	s_mul_hi_u32 s22, s23, s25
	s_wait_alu 0xfffe
	s_add_co_u32 s2, s26, s28
	s_add_co_ci_u32 s2, s27, s21
	s_mul_i32 s24, s23, s25
	s_add_co_ci_u32 s25, s22, 0
	s_wait_alu 0xfffe
	s_add_nc_u64 s[24:25], s[2:3], s[24:25]
	s_wait_alu 0xfffe
	v_add_co_u32 v4, s2, v4, s24
	s_delay_alu instid0(VALU_DEP_1) | instskip(SKIP_1) | instid1(VALU_DEP_1)
	s_cmp_lg_u32 s2, 0
	s_add_co_ci_u32 s2, s23, s25
	v_mul_hi_u32 v11, v5, v4
	s_wait_alu 0xfffe
	v_mad_co_u64_u32 v[7:8], null, v5, s2, 0
	v_mad_co_u64_u32 v[9:10], null, v6, v4, 0
	;; [unrolled: 1-line block ×3, first 2 shown]
	s_delay_alu instid0(VALU_DEP_3) | instskip(SKIP_1) | instid1(VALU_DEP_4)
	v_add_co_u32 v4, vcc_lo, v11, v7
	s_wait_alu 0xfffd
	v_add_co_ci_u32_e32 v7, vcc_lo, 0, v8, vcc_lo
	s_delay_alu instid0(VALU_DEP_2) | instskip(SKIP_1) | instid1(VALU_DEP_2)
	v_add_co_u32 v4, vcc_lo, v4, v9
	s_wait_alu 0xfffd
	v_add_co_ci_u32_e32 v4, vcc_lo, v7, v10, vcc_lo
	s_wait_alu 0xfffd
	v_add_co_ci_u32_e32 v7, vcc_lo, 0, v14, vcc_lo
	s_delay_alu instid0(VALU_DEP_2) | instskip(SKIP_1) | instid1(VALU_DEP_2)
	v_add_co_u32 v4, vcc_lo, v4, v13
	s_wait_alu 0xfffd
	v_add_co_ci_u32_e32 v9, vcc_lo, 0, v7, vcc_lo
	s_delay_alu instid0(VALU_DEP_2) | instskip(SKIP_1) | instid1(VALU_DEP_3)
	v_mul_lo_u32 v10, s19, v4
	v_mad_co_u64_u32 v[7:8], null, s18, v4, 0
	v_mul_lo_u32 v11, s18, v9
	s_delay_alu instid0(VALU_DEP_2) | instskip(NEXT) | instid1(VALU_DEP_2)
	v_sub_co_u32 v7, vcc_lo, v5, v7
	v_add3_u32 v8, v8, v11, v10
	s_delay_alu instid0(VALU_DEP_1) | instskip(SKIP_1) | instid1(VALU_DEP_1)
	v_sub_nc_u32_e32 v10, v6, v8
	s_wait_alu 0xfffd
	v_subrev_co_ci_u32_e64 v10, s2, s19, v10, vcc_lo
	v_add_co_u32 v11, s2, v4, 2
	s_wait_alu 0xf1ff
	v_add_co_ci_u32_e64 v13, s2, 0, v9, s2
	v_sub_co_u32 v14, s2, v7, s18
	v_sub_co_ci_u32_e32 v8, vcc_lo, v6, v8, vcc_lo
	s_wait_alu 0xf1ff
	v_subrev_co_ci_u32_e64 v10, s2, 0, v10, s2
	s_delay_alu instid0(VALU_DEP_3) | instskip(NEXT) | instid1(VALU_DEP_3)
	v_cmp_le_u32_e32 vcc_lo, s18, v14
	v_cmp_eq_u32_e64 s2, s19, v8
	s_wait_alu 0xfffd
	v_cndmask_b32_e64 v14, 0, -1, vcc_lo
	v_cmp_le_u32_e32 vcc_lo, s19, v10
	s_wait_alu 0xfffd
	v_cndmask_b32_e64 v15, 0, -1, vcc_lo
	v_cmp_le_u32_e32 vcc_lo, s18, v7
	;; [unrolled: 3-line block ×3, first 2 shown]
	s_wait_alu 0xfffd
	v_cndmask_b32_e64 v16, 0, -1, vcc_lo
	v_cmp_eq_u32_e32 vcc_lo, s19, v10
	s_wait_alu 0xf1ff
	s_delay_alu instid0(VALU_DEP_2)
	v_cndmask_b32_e64 v7, v16, v7, s2
	s_wait_alu 0xfffd
	v_cndmask_b32_e32 v10, v15, v14, vcc_lo
	v_add_co_u32 v14, vcc_lo, v4, 1
	s_wait_alu 0xfffd
	v_add_co_ci_u32_e32 v15, vcc_lo, 0, v9, vcc_lo
	s_delay_alu instid0(VALU_DEP_3) | instskip(SKIP_2) | instid1(VALU_DEP_3)
	v_cmp_ne_u32_e32 vcc_lo, 0, v10
	s_wait_alu 0xfffd
	v_cndmask_b32_e32 v10, v14, v11, vcc_lo
	v_cndmask_b32_e32 v8, v15, v13, vcc_lo
	v_cmp_ne_u32_e32 vcc_lo, 0, v7
	s_wait_alu 0xfffd
	s_delay_alu instid0(VALU_DEP_2)
	v_dual_cndmask_b32 v7, v4, v10 :: v_dual_cndmask_b32 v8, v9, v8
.LBB0_4:                                ;   in Loop: Header=BB0_2 Depth=1
	s_wait_alu 0xfffe
	s_and_not1_saveexec_b32 s2, s20
	s_cbranch_execz .LBB0_6
; %bb.5:                                ;   in Loop: Header=BB0_2 Depth=1
	v_cvt_f32_u32_e32 v4, s18
	s_sub_co_i32 s20, 0, s18
	s_delay_alu instid0(VALU_DEP_1) | instskip(NEXT) | instid1(TRANS32_DEP_1)
	v_rcp_iflag_f32_e32 v4, v4
	v_mul_f32_e32 v4, 0x4f7ffffe, v4
	s_delay_alu instid0(VALU_DEP_1) | instskip(SKIP_1) | instid1(VALU_DEP_1)
	v_cvt_u32_f32_e32 v4, v4
	s_wait_alu 0xfffe
	v_mul_lo_u32 v7, s20, v4
	s_delay_alu instid0(VALU_DEP_1) | instskip(NEXT) | instid1(VALU_DEP_1)
	v_mul_hi_u32 v7, v4, v7
	v_add_nc_u32_e32 v4, v4, v7
	s_delay_alu instid0(VALU_DEP_1) | instskip(NEXT) | instid1(VALU_DEP_1)
	v_mul_hi_u32 v4, v5, v4
	v_mul_lo_u32 v7, v4, s18
	v_add_nc_u32_e32 v8, 1, v4
	s_delay_alu instid0(VALU_DEP_2) | instskip(NEXT) | instid1(VALU_DEP_1)
	v_sub_nc_u32_e32 v7, v5, v7
	v_subrev_nc_u32_e32 v9, s18, v7
	v_cmp_le_u32_e32 vcc_lo, s18, v7
	s_wait_alu 0xfffd
	s_delay_alu instid0(VALU_DEP_2) | instskip(NEXT) | instid1(VALU_DEP_1)
	v_dual_cndmask_b32 v7, v7, v9 :: v_dual_cndmask_b32 v4, v4, v8
	v_cmp_le_u32_e32 vcc_lo, s18, v7
	s_delay_alu instid0(VALU_DEP_2) | instskip(SKIP_1) | instid1(VALU_DEP_1)
	v_add_nc_u32_e32 v8, 1, v4
	s_wait_alu 0xfffd
	v_dual_cndmask_b32 v7, v4, v8 :: v_dual_mov_b32 v8, v3
.LBB0_6:                                ;   in Loop: Header=BB0_2 Depth=1
	s_wait_alu 0xfffe
	s_or_b32 exec_lo, exec_lo, s2
	s_load_b64 s[20:21], s[12:13], 0x0
	s_delay_alu instid0(VALU_DEP_1)
	v_mul_lo_u32 v4, v8, s18
	v_mul_lo_u32 v11, v7, s19
	v_mad_co_u64_u32 v[9:10], null, v7, s18, 0
	s_add_nc_u64 s[14:15], s[14:15], 1
	s_add_nc_u64 s[12:13], s[12:13], 8
	s_wait_alu 0xfffe
	v_cmp_ge_u64_e64 s2, s[14:15], s[6:7]
	s_add_nc_u64 s[16:17], s[16:17], 8
	s_delay_alu instid0(VALU_DEP_2) | instskip(NEXT) | instid1(VALU_DEP_3)
	v_add3_u32 v4, v10, v11, v4
	v_sub_co_u32 v5, vcc_lo, v5, v9
	s_wait_alu 0xfffd
	s_delay_alu instid0(VALU_DEP_2) | instskip(SKIP_3) | instid1(VALU_DEP_2)
	v_sub_co_ci_u32_e32 v4, vcc_lo, v6, v4, vcc_lo
	s_and_b32 vcc_lo, exec_lo, s2
	s_wait_kmcnt 0x0
	v_mul_lo_u32 v6, s21, v5
	v_mul_lo_u32 v4, s20, v4
	v_mad_co_u64_u32 v[1:2], null, s20, v5, v[1:2]
	s_delay_alu instid0(VALU_DEP_1)
	v_add3_u32 v2, v6, v2, v4
	s_wait_alu 0xfffe
	s_cbranch_vccnz .LBB0_9
; %bb.7:                                ;   in Loop: Header=BB0_2 Depth=1
	v_dual_mov_b32 v5, v7 :: v_dual_mov_b32 v6, v8
	s_branch .LBB0_2
.LBB0_8:
	v_dual_mov_b32 v8, v6 :: v_dual_mov_b32 v7, v5
.LBB0_9:
	s_lshl_b64 s[2:3], s[6:7], 3
	v_mul_hi_u32 v5, 0x97b425f, v0
	s_wait_alu 0xfffe
	s_add_nc_u64 s[2:3], s[10:11], s[2:3]
                                        ; implicit-def: $vgpr42
                                        ; implicit-def: $vgpr40
                                        ; implicit-def: $vgpr38
                                        ; implicit-def: $vgpr34
                                        ; implicit-def: $vgpr14
                                        ; implicit-def: $vgpr28
                                        ; implicit-def: $vgpr32
                                        ; implicit-def: $vgpr16
                                        ; implicit-def: $vgpr30
                                        ; implicit-def: $vgpr36
                                        ; implicit-def: $vgpr18
                                        ; implicit-def: $vgpr11
                                        ; implicit-def: $vgpr26
                                        ; implicit-def: $vgpr24
                                        ; implicit-def: $vgpr22
                                        ; implicit-def: $vgpr20
	s_load_b64 s[2:3], s[2:3], 0x0
	s_load_b64 s[0:1], s[0:1], 0x20
	s_wait_kmcnt 0x0
	v_mul_lo_u32 v3, s2, v8
	v_mul_lo_u32 v4, s3, v7
	v_mad_co_u64_u32 v[1:2], null, s2, v7, v[1:2]
	v_cmp_gt_u64_e64 s0, s[0:1], v[7:8]
	s_delay_alu instid0(VALU_DEP_2) | instskip(SKIP_1) | instid1(VALU_DEP_2)
	v_add3_u32 v2, v4, v2, v3
	v_mul_u32_u24_e32 v3, 27, v5
	v_lshlrev_b64_e32 v[6:7], 3, v[1:2]
	s_delay_alu instid0(VALU_DEP_2)
	v_sub_nc_u32_e32 v4, v0, v3
                                        ; implicit-def: $vgpr1
                                        ; implicit-def: $vgpr3
	s_and_saveexec_b32 s1, s0
	s_cbranch_execz .LBB0_13
; %bb.10:
	v_mov_b32_e32 v5, 0
	s_delay_alu instid0(VALU_DEP_3) | instskip(SKIP_2) | instid1(VALU_DEP_3)
	v_add_co_u32 v2, vcc_lo, s8, v6
	s_wait_alu 0xfffd
	v_add_co_ci_u32_e32 v3, vcc_lo, s9, v7, vcc_lo
	v_lshlrev_b64_e32 v[0:1], 3, v[4:5]
	s_mov_b32 s2, exec_lo
                                        ; implicit-def: $vgpr19
                                        ; implicit-def: $vgpr21
                                        ; implicit-def: $vgpr23
	s_delay_alu instid0(VALU_DEP_1) | instskip(SKIP_1) | instid1(VALU_DEP_2)
	v_add_co_u32 v8, vcc_lo, v2, v0
	s_wait_alu 0xfffd
	v_add_co_ci_u32_e32 v9, vcc_lo, v3, v1, vcc_lo
	s_clause 0xe
	global_load_b64 v[33:34], v[8:9], off offset:2520
	global_load_b64 v[37:38], v[8:9], off offset:1368
	;; [unrolled: 1-line block ×3, first 2 shown]
	global_load_b64 v[0:1], v[8:9], off
	global_load_b64 v[2:3], v[8:9], off offset:216
	global_load_b64 v[13:14], v[8:9], off offset:432
	;; [unrolled: 1-line block ×11, first 2 shown]
	v_cmpx_gt_u32_e32 9, v4
; %bb.11:
	s_clause 0x2
	global_load_b64 v[19:20], v[8:9], off offset:1080
	global_load_b64 v[21:22], v[8:9], off offset:2232
	global_load_b64 v[23:24], v[8:9], off offset:3384
; %bb.12:
	s_wait_alu 0xfffe
	s_or_b32 exec_lo, exec_lo, s2
.LBB0_13:
	s_wait_alu 0xfffe
	s_or_b32 exec_lo, exec_lo, s1
	s_wait_loadcnt 0x6
	v_dual_add_f32 v12, v0, v41 :: v_dual_and_b32 v5, 1, v12
	s_wait_loadcnt 0x4
	v_add_f32_e32 v9, v41, v39
	v_add_f32_e32 v43, v37, v33
	v_mad_u32_u24 v48, v4, 12, 0
	v_cmp_eq_u32_e32 vcc_lo, 1, v5
	v_dual_add_f32 v44, v12, v39 :: v_dual_sub_f32 v5, v42, v40
	v_sub_f32_e32 v12, v38, v34
	v_fmac_f32_e32 v0, -0.5, v9
	v_dual_add_f32 v9, v2, v37 :: v_dual_fmac_f32 v2, -0.5, v43
	s_wait_alu 0xfffd
	v_cndmask_b32_e64 v8, 0, 0x1b0, vcc_lo
	s_wait_loadcnt 0x0
	v_sub_f32_e32 v47, v11, v26
	v_fmamk_f32 v45, v5, 0xbf5db3d7, v0
	v_dual_fmac_f32 v0, 0x3f5db3d7, v5 :: v_dual_add_f32 v5, v27, v31
	v_dual_add_f32 v49, v9, v33 :: v_dual_fmamk_f32 v50, v12, 0xbf5db3d7, v2
	v_dual_add_f32 v9, v13, v27 :: v_dual_fmac_f32 v2, 0x3f5db3d7, v12
	s_delay_alu instid0(VALU_DEP_3) | instskip(SKIP_1) | instid1(VALU_DEP_3)
	v_dual_add_f32 v12, v29, v35 :: v_dual_fmac_f32 v13, -0.5, v5
	v_sub_f32_e32 v5, v28, v32
	v_add_f32_e32 v51, v9, v31
	v_add_f32_e32 v9, v15, v29
	s_delay_alu instid0(VALU_DEP_4) | instskip(SKIP_2) | instid1(VALU_DEP_2)
	v_fmac_f32_e32 v15, -0.5, v12
	v_sub_f32_e32 v12, v30, v36
	v_cmp_gt_u32_e32 vcc_lo, 9, v4
	v_fmamk_f32 v54, v12, 0xbf5db3d7, v15
	v_dual_fmac_f32 v15, 0x3f5db3d7, v12 :: v_dual_add_f32 v12, v23, v21
	v_fmamk_f32 v52, v5, 0xbf5db3d7, v13
	v_fmac_f32_e32 v13, 0x3f5db3d7, v5
	v_add_f32_e32 v53, v9, v35
	v_add_f32_e32 v5, v10, v25
	;; [unrolled: 1-line block ×3, first 2 shown]
	v_fma_f32 v43, -0.5, v12, v19
	s_delay_alu instid0(VALU_DEP_2) | instskip(NEXT) | instid1(VALU_DEP_1)
	v_dual_sub_f32 v12, v22, v24 :: v_dual_add_f32 v55, v9, v25
	v_fmamk_f32 v9, v12, 0xbf5db3d7, v43
	v_fmac_f32_e32 v43, 0x3f5db3d7, v12
	v_dual_fmac_f32 v17, -0.5, v5 :: v_dual_add_nc_u32 v12, 0x510, v48
	v_lshlrev_b32_e32 v5, 2, v8
	s_delay_alu instid0(VALU_DEP_1) | instskip(NEXT) | instid1(VALU_DEP_1)
	v_add_nc_u32_e32 v46, v48, v5
	v_add_nc_u32_e32 v48, 0x288, v46
	s_delay_alu instid0(VALU_DEP_4)
	v_fmamk_f32 v56, v47, 0xbf5db3d7, v17
	v_fmac_f32_e32 v17, 0x3f5db3d7, v47
	v_add_nc_u32_e32 v47, 0x144, v46
	ds_store_2addr_b32 v46, v0, v2 offset0:2 offset1:83
	v_add_nc_u32_e32 v2, 0x3cc, v46
	v_add_nc_u32_e32 v0, v12, v5
	ds_store_2addr_b32 v46, v44, v45 offset1:1
	ds_store_2addr_b32 v46, v49, v50 offset0:81 offset1:82
	ds_store_2addr_b32 v46, v51, v52 offset0:162 offset1:163
	;; [unrolled: 1-line block ×4, first 2 shown]
	ds_store_b32 v0, v55
	ds_store_2addr_b32 v0, v56, v17 offset0:1 offset1:2
	s_and_saveexec_b32 s1, vcc_lo
	s_cbranch_execz .LBB0_15
; %bb.14:
	v_add_f32_e32 v13, v21, v19
	v_lshl_add_u32 v8, v8, 2, v12
	s_delay_alu instid0(VALU_DEP_2)
	v_add_f32_e32 v12, v23, v13
	ds_store_b32 v8, v12 offset:324
	ds_store_2addr_b32 v8, v9, v43 offset0:82 offset1:83
.LBB0_15:
	s_wait_alu 0xfffe
	s_or_b32 exec_lo, exec_lo, s1
	v_dual_add_f32 v8, v42, v40 :: v_dual_sub_f32 v13, v41, v39
	v_add_f32_e32 v12, v1, v42
	v_add_f32_e32 v15, v38, v34
	global_wb scope:SCOPE_SE
	s_wait_dscnt 0x0
	v_dual_fmac_f32 v1, -0.5, v8 :: v_dual_add_f32 v8, v3, v38
	v_sub_f32_e32 v17, v37, v33
	v_add_f32_e32 v37, v12, v40
	s_barrier_signal -1
	v_add_f32_e32 v12, v30, v36
	v_add_f32_e32 v40, v8, v34
	v_dual_add_f32 v8, v28, v32 :: v_dual_fmac_f32 v3, -0.5, v15
	v_fmamk_f32 v15, v13, 0x3f5db3d7, v1
	v_fmac_f32_e32 v1, 0xbf5db3d7, v13
	v_add_f32_e32 v13, v14, v28
	s_delay_alu instid0(VALU_DEP_4)
	v_dual_fmac_f32 v14, -0.5, v8 :: v_dual_fmamk_f32 v41, v17, 0x3f5db3d7, v3
	v_dual_fmac_f32 v3, 0xbf5db3d7, v17 :: v_dual_sub_f32 v8, v27, v31
	v_dual_add_f32 v17, v16, v30 :: v_dual_fmac_f32 v16, -0.5, v12
	v_sub_f32_e32 v12, v29, v35
	s_barrier_wait -1
	v_sub_f32_e32 v21, v21, v23
	global_inv scope:SCOPE_SE
	v_add_nc_u32_e32 v44, 0x87, v4
	v_fmamk_f32 v51, v12, 0x3f5db3d7, v16
	v_fmac_f32_e32 v16, 0xbf5db3d7, v12
	v_add_f32_e32 v12, v24, v22
	v_dual_add_f32 v42, v13, v32 :: v_dual_fmamk_f32 v49, v8, 0x3f5db3d7, v14
	v_add_f32_e32 v50, v17, v36
	v_fmac_f32_e32 v14, 0xbf5db3d7, v8
	v_dual_add_f32 v8, v18, v11 :: v_dual_add_f32 v11, v11, v26
	v_lshlrev_b32_e32 v13, 2, v4
	v_fma_f32 v39, -0.5, v12, v20
	s_delay_alu instid0(VALU_DEP_3) | instskip(NEXT) | instid1(VALU_DEP_3)
	v_add_f32_e32 v52, v8, v26
	v_add_nc_u32_e32 v8, 0, v13
	v_dual_fmac_f32 v18, -0.5, v11 :: v_dual_sub_f32 v11, v10, v25
	v_add3_u32 v38, 0, v5, v13
	s_delay_alu instid0(VALU_DEP_3) | instskip(NEXT) | instid1(VALU_DEP_3)
	v_add_nc_u32_e32 v45, v8, v5
	v_fmamk_f32 v23, v11, 0x3f5db3d7, v18
	v_fmac_f32_e32 v18, 0xbf5db3d7, v11
	v_fmamk_f32 v11, v21, 0x3f5db3d7, v39
	v_fmac_f32_e32 v39, 0xbf5db3d7, v21
	v_add_nc_u32_e32 v17, 0x200, v45
	v_add_nc_u32_e32 v10, 0x400, v45
	ds_load_2addr_b32 v[35:36], v45 offset0:27 offset1:54
	ds_load_2addr_b32 v[33:34], v45 offset0:81 offset1:108
	;; [unrolled: 1-line block ×7, first 2 shown]
	ds_load_b32 v8, v38
	ds_load_b32 v19, v45 offset:1620
	global_wb scope:SCOPE_SE
	s_wait_dscnt 0x0
	s_barrier_signal -1
	s_barrier_wait -1
	global_inv scope:SCOPE_SE
	ds_store_2addr_b32 v46, v37, v15 offset1:1
	ds_store_b32 v46, v1 offset:8
	ds_store_2addr_b32 v47, v40, v41 offset1:1
	ds_store_b32 v47, v3 offset:8
	;; [unrolled: 2-line block ×4, first 2 shown]
	ds_store_b32 v0, v52
	ds_store_2addr_b32 v0, v23, v18 offset0:1 offset1:2
	s_and_saveexec_b32 s1, vcc_lo
	s_cbranch_execz .LBB0_17
; %bb.16:
	v_add_f32_e32 v0, v22, v20
	v_mul_u32_u24_e32 v1, 12, v44
	s_delay_alu instid0(VALU_DEP_2) | instskip(NEXT) | instid1(VALU_DEP_2)
	v_add_f32_e32 v0, v24, v0
	v_add3_u32 v1, 0, v1, v5
	ds_store_2addr_b32 v1, v0, v11 offset1:1
	ds_store_b32 v1, v39 offset:8
.LBB0_17:
	s_wait_alu 0xfffe
	s_or_b32 exec_lo, exec_lo, s1
	v_and_b32_e32 v0, 0xff, v4
	global_wb scope:SCOPE_SE
	s_wait_dscnt 0x0
	s_barrier_signal -1
	s_barrier_wait -1
	global_inv scope:SCOPE_SE
	v_mul_lo_u16 v0, 0xab, v0
	s_delay_alu instid0(VALU_DEP_1) | instskip(NEXT) | instid1(VALU_DEP_1)
	v_lshrrev_b16 v14, 9, v0
	v_mul_lo_u16 v0, v14, 3
	s_delay_alu instid0(VALU_DEP_1) | instskip(NEXT) | instid1(VALU_DEP_1)
	v_sub_nc_u16 v0, v4, v0
	v_and_b32_e32 v16, 0xff, v0
	s_delay_alu instid0(VALU_DEP_1) | instskip(NEXT) | instid1(VALU_DEP_1)
	v_mul_u32_u24_e32 v0, 15, v16
	v_lshlrev_b32_e32 v15, 3, v0
	s_clause 0x7
	global_load_b128 v[20:23], v15, s[4:5]
	global_load_b128 v[46:49], v15, s[4:5] offset:16
	global_load_b128 v[50:53], v15, s[4:5] offset:32
	;; [unrolled: 1-line block ×6, first 2 shown]
	global_load_b64 v[40:41], v15, s[4:5] offset:112
	ds_load_2addr_b32 v[66:67], v45 offset0:27 offset1:54
	ds_load_2addr_b32 v[68:69], v45 offset0:81 offset1:108
	v_and_b32_e32 v14, 0xffff, v14
	s_wait_loadcnt_dscnt 0x701
	v_mul_f32_e32 v42, v67, v23
	s_wait_loadcnt_dscnt 0x600
	v_mul_f32_e32 v78, v68, v47
	v_mul_f32_e32 v47, v33, v47
	v_mul_u32_u24_e32 v18, 48, v14
	ds_load_2addr_b32 v[70:71], v45 offset0:135 offset1:162
	ds_load_2addr_b32 v[14:15], v45 offset0:189 offset1:216
	;; [unrolled: 1-line block ×3, first 2 shown]
	v_dual_mul_f32 v23, v36, v23 :: v_dual_mul_f32 v24, v66, v21
	v_mul_f32_e32 v21, v35, v21
	v_or_b32_e32 v16, v18, v16
	ds_load_2addr_b32 v[74:75], v10 offset0:41 offset1:68
	ds_load_2addr_b32 v[76:77], v10 offset0:95 offset1:122
	ds_load_b32 v37, v38
	ds_load_b32 v18, v45 offset:1620
	global_wb scope:SCOPE_SE
	s_wait_loadcnt_dscnt 0x0
	v_mul_f32_e32 v79, v69, v49
	v_dual_mul_f32 v49, v34, v49 :: v_dual_lshlrev_b32 v16, 2, v16
	s_barrier_signal -1
	s_barrier_wait -1
	global_inv scope:SCOPE_SE
	v_fmac_f32_e32 v42, v36, v22
	v_add3_u32 v16, 0, v16, v5
	v_fmac_f32_e32 v24, v35, v20
	v_mul_f32_e32 v35, v27, v59
	v_fma_f32 v20, v66, v20, -v21
	v_mul_f32_e32 v80, v70, v51
	v_dual_mul_f32 v51, v31, v51 :: v_dual_mul_f32 v82, v14, v1
	v_mul_f32_e32 v81, v71, v53
	v_mul_f32_e32 v53, v32, v53
	v_dual_mul_f32 v1, v12, v1 :: v_dual_mul_f32 v86, v74, v59
	v_mul_f32_e32 v83, v15, v3
	v_dual_mul_f32 v84, v72, v55 :: v_dual_mul_f32 v85, v73, v57
	v_mul_f32_e32 v55, v29, v55
	v_dual_mul_f32 v57, v30, v57 :: v_dual_fmac_f32 v78, v33, v46
	v_mul_f32_e32 v36, v75, v61
	v_fma_f32 v21, v67, v22, -v23
	v_mul_f32_e32 v23, v76, v63
	v_dual_mul_f32 v22, v28, v61 :: v_dual_mul_f32 v59, v25, v63
	v_dual_mul_f32 v61, v77, v65 :: v_dual_fmac_f32 v80, v31, v50
	v_dual_mul_f32 v63, v26, v65 :: v_dual_fmac_f32 v82, v12, v0
	;; [unrolled: 1-line block ×3, first 2 shown]
	v_dual_fmac_f32 v79, v34, v48 :: v_dual_fmac_f32 v86, v27, v58
	v_mul_f32_e32 v34, v19, v41
	v_fma_f32 v41, v68, v46, -v47
	v_fma_f32 v33, v69, v48, -v49
	v_fma_f32 v47, v71, v52, -v53
	v_fma_f32 v0, v14, v0, -v1
	v_dual_fmac_f32 v83, v13, v2 :: v_dual_fmac_f32 v36, v28, v60
	v_fma_f32 v12, v73, v56, -v57
	v_fma_f32 v14, v74, v58, -v35
	;; [unrolled: 1-line block ×3, first 2 shown]
	v_fmac_f32_e32 v81, v32, v52
	v_fmac_f32_e32 v61, v26, v64
	v_fma_f32 v26, v77, v64, -v63
	v_fmac_f32_e32 v85, v30, v56
	v_fma_f32 v31, v70, v50, -v51
	v_fma_f32 v1, v72, v54, -v55
	v_dual_fmac_f32 v23, v25, v62 :: v_dual_sub_f32 v32, v79, v36
	v_fma_f32 v25, v76, v62, -v59
	v_fma_f32 v18, v18, v40, -v34
	v_sub_f32_e32 v36, v33, v22
	v_sub_f32_e32 v12, v21, v12
	;; [unrolled: 1-line block ×3, first 2 shown]
	v_dual_fmac_f32 v65, v19, v40 :: v_dual_sub_f32 v22, v42, v85
	v_dual_sub_f32 v19, v8, v83 :: v_dual_sub_f32 v30, v41, v14
	v_dual_sub_f32 v27, v81, v61 :: v_dual_sub_f32 v28, v24, v84
	s_delay_alu instid0(VALU_DEP_3) | instskip(NEXT) | instid1(VALU_DEP_4)
	v_dual_sub_f32 v1, v20, v1 :: v_dual_add_f32 v52, v22, v26
	v_dual_sub_f32 v23, v80, v23 :: v_dual_sub_f32 v14, v82, v65
	v_dual_sub_f32 v25, v31, v25 :: v_dual_sub_f32 v18, v0, v18
	v_fma_f32 v35, v42, 2.0, -v22
	v_fma_f32 v46, v21, 2.0, -v12
	;; [unrolled: 1-line block ×3, first 2 shown]
	v_sub_f32_e32 v29, v78, v86
	v_fma_f32 v8, v8, 2.0, -v19
	v_fma_f32 v34, v79, 2.0, -v32
	;; [unrolled: 1-line block ×10, first 2 shown]
	v_dual_sub_f32 v53, v12, v27 :: v_dual_sub_f32 v26, v30, v14
	v_sub_f32_e32 v14, v35, v21
	v_fma_f32 v47, v78, 2.0, -v29
	v_dual_add_f32 v51, v19, v36 :: v_dual_add_f32 v18, v29, v18
	v_sub_f32_e32 v23, v1, v23
	v_add_f32_e32 v25, v28, v25
	v_dual_sub_f32 v27, v8, v34 :: v_dual_sub_f32 v0, v41, v0
	v_sub_f32_e32 v49, v46, v40
	v_fma_f32 v54, v22, 2.0, -v52
	v_sub_f32_e32 v22, v20, v31
	v_dual_sub_f32 v40, v47, v48 :: v_dual_sub_f32 v21, v24, v42
	v_fma_f32 v48, v30, 2.0, -v26
	v_fmamk_f32 v56, v52, 0x3f3504f3, v51
	v_fma_f32 v1, v1, 2.0, -v23
	v_fma_f32 v19, v19, 2.0, -v51
	;; [unrolled: 1-line block ×3, first 2 shown]
	v_fmamk_f32 v12, v18, 0x3f3504f3, v25
	v_fma_f32 v28, v28, 2.0, -v25
	v_fma_f32 v29, v29, 2.0, -v18
	v_dual_fmamk_f32 v31, v26, 0x3f3504f3, v23 :: v_dual_add_f32 v58, v27, v49
	v_fma_f32 v57, v8, 2.0, -v27
	v_fma_f32 v8, v35, 2.0, -v14
	;; [unrolled: 1-line block ×4, first 2 shown]
	v_dual_fmac_f32 v56, 0x3f3504f3, v53 :: v_dual_add_f32 v59, v21, v0
	v_fmamk_f32 v34, v48, 0xbf3504f3, v1
	v_fma_f32 v24, v24, 2.0, -v21
	v_fma_f32 v20, v47, 2.0, -v40
	v_dual_fmamk_f32 v41, v54, 0xbf3504f3, v19 :: v_dual_fmamk_f32 v30, v29, 0xbf3504f3, v28
	v_dual_sub_f32 v60, v22, v40 :: v_dual_fmac_f32 v31, 0xbf3504f3, v18
	s_delay_alu instid0(VALU_DEP_2)
	v_dual_fmac_f32 v12, 0x3f3504f3, v26 :: v_dual_fmac_f32 v41, 0x3f3504f3, v55
	v_fma_f32 v18, v27, 2.0, -v58
	v_fma_f32 v26, v51, 2.0, -v56
	v_dual_sub_f32 v51, v50, v35 :: v_dual_fmac_f32 v34, 0xbf3504f3, v29
	v_fma_f32 v61, v21, 2.0, -v59
	v_sub_f32_e32 v42, v24, v20
	v_fma_f32 v62, v22, 2.0, -v60
	v_fmac_f32_e32 v30, 0x3f3504f3, v48
	v_fma_f32 v40, v25, 2.0, -v12
	v_sub_f32_e32 v0, v57, v8
	v_fma_f32 v48, v1, 2.0, -v34
	v_fmamk_f32 v1, v61, 0xbf3504f3, v18
	v_fma_f32 v47, v23, 2.0, -v31
	v_fmamk_f32 v23, v40, 0xbec3ef15, v26
	v_fmamk_f32 v8, v12, 0x3f6c835e, v56
	v_fma_f32 v21, v57, 2.0, -v0
	v_fma_f32 v19, v19, 2.0, -v41
	;; [unrolled: 1-line block ×3, first 2 shown]
	v_fmac_f32_e32 v23, 0x3f6c835e, v47
	v_fmac_f32_e32 v1, 0x3f3504f3, v62
	v_fma_f32 v35, v28, 2.0, -v30
	v_fmamk_f32 v20, v59, 0x3f3504f3, v58
	v_sub_f32_e32 v22, v21, v22
	v_dual_add_f32 v24, v0, v51 :: v_dual_fmamk_f32 v25, v30, 0x3ec3ef15, v41
	s_delay_alu instid0(VALU_DEP_4)
	v_fmamk_f32 v27, v35, 0xbf6c835e, v19
	v_fmac_f32_e32 v8, 0x3ec3ef15, v31
	v_mul_f32_e32 v57, 0x3f3504f3, v53
	v_fma_f32 v18, v18, 2.0, -v1
	v_fmac_f32_e32 v25, 0x3f6c835e, v34
	v_fmac_f32_e32 v27, 0x3ec3ef15, v48
	v_fma_f32 v29, v56, 2.0, -v8
	v_dual_mul_f32 v56, 0x3f3504f3, v55 :: v_dual_mul_f32 v53, 0x3f3504f3, v62
	v_mul_f32_e32 v55, 0x3f3504f3, v52
	v_fmac_f32_e32 v20, 0x3f3504f3, v60
	v_fma_f32 v0, v0, 2.0, -v24
	v_mul_f32_e32 v52, 0x3f3504f3, v59
	s_delay_alu instid0(VALU_DEP_3)
	v_fma_f32 v28, v58, 2.0, -v20
	ds_store_2addr_b32 v16, v20, v8 offset0:42 offset1:45
	v_fma_f32 v20, v21, 2.0, -v22
	v_fma_f32 v21, v26, 2.0, -v23
	;; [unrolled: 1-line block ×3, first 2 shown]
	ds_store_2addr_b32 v16, v28, v29 offset0:18 offset1:21
	ds_store_2addr_b32 v16, v1, v23 offset0:30 offset1:33
	v_fma_f32 v1, v19, 2.0, -v27
	ds_store_2addr_b32 v16, v24, v25 offset0:36 offset1:39
	ds_store_2addr_b32 v16, v18, v21 offset0:6 offset1:9
	;; [unrolled: 1-line block ×4, first 2 shown]
	ds_store_2addr_b32 v16, v20, v1 offset1:3
	global_wb scope:SCOPE_SE
	s_wait_dscnt 0x0
	s_barrier_signal -1
	s_barrier_wait -1
	global_inv scope:SCOPE_SE
	ds_load_b32 v41, v38
	ds_load_2addr_b32 v[26:27], v45 offset0:144 offset1:171
	ds_load_2addr_b32 v[20:21], v17 offset0:124 offset1:160
	;; [unrolled: 1-line block ×7, first 2 shown]
	v_dual_mul_f32 v10, 0x3f3504f3, v54 :: v_dual_mul_f32 v17, 0x3f3504f3, v61
	v_mul_f32_e32 v54, 0x3f3504f3, v60
	s_and_saveexec_b32 s1, vcc_lo
	s_cbranch_execz .LBB0_19
; %bb.18:
	v_add_nc_u32_e32 v8, 0x200, v45
	ds_load_2addr_b32 v[8:9], v8 offset0:7 offset1:151
	ds_load_b32 v43, v45 offset:1692
.LBB0_19:
	s_wait_alu 0xfffe
	s_or_b32 exec_lo, exec_lo, s1
	v_mul_f32_e32 v3, v13, v3
	global_wb scope:SCOPE_SE
	s_wait_dscnt 0x0
	s_barrier_signal -1
	s_barrier_wait -1
	global_inv scope:SCOPE_SE
	v_fma_f32 v2, v15, v2, -v3
	v_fma_f32 v3, v33, 2.0, -v36
	v_fma_f32 v33, v50, 2.0, -v51
	s_delay_alu instid0(VALU_DEP_3) | instskip(NEXT) | instid1(VALU_DEP_1)
	v_sub_f32_e32 v2, v37, v2
	v_fma_f32 v13, v37, 2.0, -v2
	s_delay_alu instid0(VALU_DEP_1) | instskip(SKIP_2) | instid1(VALU_DEP_3)
	v_sub_f32_e32 v3, v13, v3
	v_sub_f32_e32 v15, v2, v32
	v_fma_f32 v32, v46, 2.0, -v49
	v_sub_f32_e32 v14, v3, v14
	s_delay_alu instid0(VALU_DEP_3) | instskip(SKIP_1) | instid1(VALU_DEP_3)
	v_fma_f32 v2, v2, 2.0, -v15
	v_add_f32_e32 v36, v15, v57
	v_add_f32_e32 v46, v14, v54
	v_fma_f32 v13, v13, 2.0, -v3
	s_delay_alu instid0(VALU_DEP_3) | instskip(SKIP_1) | instid1(VALU_DEP_2)
	v_dual_sub_f32 v37, v2, v56 :: v_dual_sub_f32 v36, v36, v55
	v_fma_f32 v3, v3, 2.0, -v14
	v_dual_sub_f32 v37, v37, v10 :: v_dual_fmamk_f32 v10, v31, 0x3f6c835e, v36
	v_fma_f32 v15, v15, 2.0, -v36
	s_delay_alu instid0(VALU_DEP_3) | instskip(NEXT) | instid1(VALU_DEP_3)
	v_dual_sub_f32 v32, v13, v32 :: v_dual_sub_f32 v31, v3, v53
	v_fma_f32 v2, v2, 2.0, -v37
	v_fmamk_f32 v34, v34, 0x3ec3ef15, v37
	s_delay_alu instid0(VALU_DEP_4) | instskip(NEXT) | instid1(VALU_DEP_4)
	v_fmamk_f32 v47, v47, 0xbec3ef15, v15
	v_fma_f32 v13, v13, 2.0, -v32
	v_sub_f32_e32 v46, v46, v52
	v_fmac_f32_e32 v10, 0xbec3ef15, v12
	v_dual_sub_f32 v42, v32, v42 :: v_dual_sub_f32 v17, v31, v17
	s_delay_alu instid0(VALU_DEP_4)
	v_dual_sub_f32 v12, v13, v33 :: v_dual_fmac_f32 v47, 0xbf6c835e, v40
	v_fmamk_f32 v33, v48, 0xbf6c835e, v2
	v_fmac_f32_e32 v34, 0xbf6c835e, v30
	v_fma_f32 v14, v14, 2.0, -v46
	v_fma_f32 v3, v3, 2.0, -v17
	;; [unrolled: 1-line block ×3, first 2 shown]
	v_fmac_f32_e32 v33, 0xbec3ef15, v35
	v_fma_f32 v30, v36, 2.0, -v10
	v_fma_f32 v31, v32, 2.0, -v42
	;; [unrolled: 1-line block ×5, first 2 shown]
	ds_store_2addr_b32 v16, v46, v10 offset0:42 offset1:45
	ds_store_2addr_b32 v16, v14, v30 offset0:18 offset1:21
	;; [unrolled: 1-line block ×7, first 2 shown]
	ds_store_2addr_b32 v16, v13, v2 offset1:3
	v_add_nc_u32_e32 v2, 0x200, v45
	v_add_nc_u32_e32 v3, 0x400, v45
	global_wb scope:SCOPE_SE
	s_wait_dscnt 0x0
	s_barrier_signal -1
	s_barrier_wait -1
	global_inv scope:SCOPE_SE
	ds_load_b32 v40, v38
	ds_load_2addr_b32 v[34:35], v45 offset0:144 offset1:171
	ds_load_2addr_b32 v[12:13], v2 offset0:124 offset1:160
	;; [unrolled: 1-line block ×7, first 2 shown]
	s_and_saveexec_b32 s1, vcc_lo
	s_cbranch_execz .LBB0_21
; %bb.20:
	ds_load_2addr_b32 v[10:11], v2 offset0:7 offset1:151
	ds_load_b32 v39, v45 offset:1692
.LBB0_21:
	s_wait_alu 0xfffe
	s_or_b32 exec_lo, exec_lo, s1
	v_dual_mov_b32 v49, 0 :: v_dual_lshlrev_b32 v48, 1, v4
	v_add_nc_u32_e32 v47, 27, v4
	v_subrev_nc_u32_e32 v42, 21, v4
	v_cmp_gt_u32_e64 s1, 21, v4
	s_delay_alu instid0(VALU_DEP_4) | instskip(SKIP_2) | instid1(VALU_DEP_3)
	v_lshlrev_b64_e32 v[2:3], 3, v[48:49]
	v_dual_mov_b32 v51, v49 :: v_dual_add_nc_u32 v48, 12, v48
	s_wait_alu 0xf1ff
	v_cndmask_b32_e64 v42, v42, v47, s1
	s_delay_alu instid0(VALU_DEP_2) | instskip(NEXT) | instid1(VALU_DEP_4)
	v_lshlrev_b64_e32 v[52:53], 3, v[48:49]
	v_add_co_u32 v2, s1, s4, v2
	s_wait_alu 0xf1ff
	v_add_co_ci_u32_e64 v3, s1, s5, v3, s1
	global_load_b128 v[56:59], v[2:3], off offset:360
	v_lshlrev_b32_e32 v50, 1, v42
	v_add_nc_u32_e32 v48, 0x51, v4
	v_add_nc_u32_e32 v46, 0x6c, v4
	s_delay_alu instid0(VALU_DEP_3) | instskip(SKIP_3) | instid1(VALU_DEP_3)
	v_lshlrev_b64_e32 v[49:50], 3, v[50:51]
	v_add_co_u32 v51, s1, s4, v52
	s_wait_alu 0xf1ff
	v_add_co_ci_u32_e64 v52, s1, s5, v53, s1
	v_add_co_u32 v49, s1, s4, v49
	s_wait_alu 0xf1ff
	v_add_co_ci_u32_e64 v50, s1, s5, v50, s1
	global_load_b128 v[62:65], v[51:52], off offset:360
	v_cmp_lt_u32_e64 s1, 20, v4
	global_load_b128 v[66:69], v[49:50], off offset:360
	v_and_b32_e32 v53, 0xff, v48
	v_and_b32_e32 v51, 0xff, v46
	v_lshlrev_b32_e32 v42, 2, v42
	s_delay_alu instid0(VALU_DEP_3) | instskip(NEXT) | instid1(VALU_DEP_3)
	v_mul_lo_u16 v52, 0xab, v53
	v_mul_lo_u16 v50, 0xab, v51
	s_delay_alu instid0(VALU_DEP_2) | instskip(NEXT) | instid1(VALU_DEP_2)
	v_lshrrev_b16 v51, 13, v52
	v_lshrrev_b16 v50, 13, v50
	s_delay_alu instid0(VALU_DEP_2) | instskip(NEXT) | instid1(VALU_DEP_2)
	v_mul_lo_u16 v52, v51, 48
	v_mul_lo_u16 v50, v50, 48
	s_delay_alu instid0(VALU_DEP_2) | instskip(NEXT) | instid1(VALU_DEP_2)
	v_sub_nc_u16 v52, v48, v52
	v_sub_nc_u16 v50, v46, v50
	s_delay_alu instid0(VALU_DEP_2) | instskip(NEXT) | instid1(VALU_DEP_1)
	v_and_b32_e32 v52, 0xff, v52
	v_lshlrev_b32_e32 v53, 4, v52
	v_lshlrev_b32_e32 v52, 2, v52
	global_load_b128 v[70:73], v53, s[4:5] offset:360
	v_and_b32_e32 v49, 0xff, v44
	s_delay_alu instid0(VALU_DEP_1) | instskip(NEXT) | instid1(VALU_DEP_1)
	v_mul_lo_u16 v49, 0xab, v49
	v_lshrrev_b16 v49, 13, v49
	s_delay_alu instid0(VALU_DEP_1) | instskip(NEXT) | instid1(VALU_DEP_1)
	v_mul_lo_u16 v49, v49, 48
	v_sub_nc_u16 v49, v44, v49
	s_delay_alu instid0(VALU_DEP_1) | instskip(NEXT) | instid1(VALU_DEP_1)
	v_and_b32_e32 v54, 0xff, v49
	v_lshlrev_b32_e32 v53, 4, v54
	s_wait_loadcnt_dscnt 0x306
	v_dual_mul_f32 v55, v34, v57 :: v_dual_and_b32 v50, 0xff, v50
	s_delay_alu instid0(VALU_DEP_1) | instskip(SKIP_1) | instid1(VALU_DEP_3)
	v_fmac_f32_e32 v55, v26, v56
	v_and_b32_e32 v51, 0xffff, v51
	v_lshlrev_b32_e32 v49, 4, v50
	s_delay_alu instid0(VALU_DEP_2) | instskip(NEXT) | instid1(VALU_DEP_1)
	v_mad_u32_u24 v51, 0x240, v51, 0
	v_add3_u32 v51, v51, v52, v5
	s_wait_dscnt 0x5
	v_dual_mul_f32 v52, v26, v57 :: v_dual_mul_f32 v57, v13, v59
	s_wait_loadcnt_dscnt 0x103
	v_mul_f32_e32 v60, v36, v69
	v_mul_f32_e32 v26, v29, v65
	s_delay_alu instid0(VALU_DEP_3)
	v_fma_f32 v61, v34, v56, -v52
	v_mul_f32_e32 v56, v28, v69
	s_clause 0x1
	global_load_b128 v[74:77], v49, s[4:5] offset:360
	global_load_b128 v[78:81], v53, s[4:5] offset:360
	s_wait_alu 0xf1ff
	v_cndmask_b32_e64 v49, 0, 0x240, s1
	v_mul_f32_e32 v53, v21, v59
	v_mul_f32_e32 v34, v37, v65
	v_fmac_f32_e32 v57, v21, v58
	v_mul_f32_e32 v21, v24, v63
	v_dual_mul_f32 v52, v27, v67 :: v_dual_add_nc_u32 v49, 0, v49
	s_delay_alu instid0(VALU_DEP_4)
	v_fmac_f32_e32 v34, v29, v64
	v_fma_f32 v37, v37, v64, -v26
	global_wb scope:SCOPE_SE
	s_wait_loadcnt_dscnt 0x0
	v_add3_u32 v49, v49, v42, v5
	v_lshlrev_b32_e32 v42, 2, v54
	v_fma_f32 v54, v13, v58, -v53
	v_mul_f32_e32 v13, v32, v63
	v_mul_f32_e32 v58, v35, v67
	v_fma_f32 v53, v32, v62, -v21
	v_add_f32_e32 v21, v41, v55
	v_fma_f32 v63, v35, v66, -v52
	v_dual_fmac_f32 v13, v24, v62 :: v_dual_add_f32 v24, v55, v57
	v_lshlrev_b32_e32 v50, 2, v50
	v_fmac_f32_e32 v60, v28, v68
	v_fma_f32 v62, v36, v68, -v56
	s_delay_alu instid0(VALU_DEP_4)
	v_dual_sub_f32 v28, v53, v37 :: v_dual_fmac_f32 v41, -0.5, v24
	v_fmac_f32_e32 v58, v27, v66
	v_add_f32_e32 v27, v13, v34
	v_sub_f32_e32 v26, v61, v54
	v_add_f32_e32 v24, v1, v13
	v_add3_u32 v50, 0, v50, v5
	v_dual_sub_f32 v66, v63, v62 :: v_dual_mul_f32 v59, v30, v73
	v_fmac_f32_e32 v1, -0.5, v27
	v_fmamk_f32 v29, v26, 0xbf5db3d7, v41
	v_fmac_f32_e32 v41, 0x3f5db3d7, v26
	v_dual_add_f32 v26, v0, v58 :: v_dual_mul_f32 v27, v25, v71
	v_add_f32_e32 v64, v58, v60
	v_mul_f32_e32 v56, v33, v71
	v_dual_add_f32 v24, v24, v34 :: v_dual_mul_f32 v67, v22, v73
	v_dual_add_f32 v21, v21, v57 :: v_dual_add_nc_u32 v82, 0x400, v50
	v_fma_f32 v65, v33, v70, -v27
	s_barrier_signal -1
	s_barrier_wait -1
	global_inv scope:SCOPE_SE
	ds_store_2addr_b32 v45, v21, v29 offset1:48
	ds_store_b32 v45, v41 offset:384
	v_dual_fmac_f32 v59, v22, v72 :: v_dual_mul_f32 v68, v20, v75
	v_mul_f32_e32 v35, v11, v79
	v_mul_f32_e32 v32, v12, v75
	v_dual_mul_f32 v52, v39, v81 :: v_dual_fmamk_f32 v75, v28, 0xbf5db3d7, v1
	v_dual_mul_f32 v36, v31, v77 :: v_dual_mul_f32 v71, v9, v79
	v_mul_f32_e32 v69, v23, v77
	v_dual_mul_f32 v73, v43, v81 :: v_dual_add_f32 v26, v26, v60
	v_fmac_f32_e32 v35, v9, v78
	v_fma_f32 v0, -0.5, v64, v0
	v_dual_fmac_f32 v1, 0x3f5db3d7, v28 :: v_dual_fmac_f32 v32, v20, v74
	v_fmac_f32_e32 v56, v25, v70
	s_delay_alu instid0(VALU_DEP_4)
	v_dual_fmac_f32 v52, v43, v80 :: v_dual_add_f32 v25, v8, v35
	v_fma_f32 v64, v30, v72, -v67
	v_fma_f32 v33, v12, v74, -v68
	v_fma_f32 v30, v31, v76, -v69
	v_fmac_f32_e32 v36, v23, v76
	v_fma_f32 v41, v11, v78, -v71
	v_fma_f32 v31, v39, v80, -v73
	v_add_f32_e32 v21, v19, v32
	v_sub_f32_e32 v23, v33, v30
	v_dual_fmamk_f32 v9, v66, 0xbf5db3d7, v0 :: v_dual_add_f32 v12, v56, v59
	v_dual_fmac_f32 v0, 0x3f5db3d7, v66 :: v_dual_add_f32 v27, v35, v52
	v_add_f32_e32 v11, v18, v56
	v_add_f32_e32 v22, v32, v36
	v_sub_f32_e32 v20, v65, v64
	v_sub_f32_e32 v28, v41, v31
	ds_store_2addr_b32 v49, v26, v9 offset1:48
	ds_store_b32 v49, v0 offset:384
	ds_store_2addr_b32 v45, v24, v75 offset0:150 offset1:198
	ds_store_b32 v45, v1 offset:984
	v_add_f32_e32 v9, v11, v59
	v_fmac_f32_e32 v19, -0.5, v22
	v_fma_f32 v11, -0.5, v12, v18
	v_fmac_f32_e32 v8, -0.5, v27
	v_add_f32_e32 v0, v25, v52
	s_delay_alu instid0(VALU_DEP_3) | instskip(SKIP_1) | instid1(VALU_DEP_4)
	v_fmamk_f32 v18, v20, 0xbf5db3d7, v11
	v_fmac_f32_e32 v11, 0x3f5db3d7, v20
	v_dual_add_f32 v12, v21, v36 :: v_dual_fmamk_f32 v1, v28, 0xbf5db3d7, v8
	v_fmac_f32_e32 v8, 0x3f5db3d7, v28
	v_fmamk_f32 v20, v23, 0xbf5db3d7, v19
	v_fmac_f32_e32 v19, 0x3f5db3d7, v23
	ds_store_2addr_b32 v51, v9, v18 offset1:48
	ds_store_b32 v51, v11 offset:384
	ds_store_2addr_b32 v82, v12, v20 offset0:32 offset1:80
	ds_store_b32 v50, v19 offset:1536
	s_and_saveexec_b32 s1, vcc_lo
	s_cbranch_execz .LBB0_23
; %bb.22:
	v_add3_u32 v9, 0, v42, v5
	s_delay_alu instid0(VALU_DEP_1)
	v_add_nc_u32_e32 v11, 0x400, v9
	ds_store_2addr_b32 v11, v0, v1 offset0:32 offset1:80
	ds_store_b32 v9, v8 offset:1536
.LBB0_23:
	s_wait_alu 0xfffe
	s_or_b32 exec_lo, exec_lo, s1
	v_add_nc_u32_e32 v66, 0x200, v45
	v_add_nc_u32_e32 v26, 0x400, v45
	global_wb scope:SCOPE_SE
	s_wait_dscnt 0x0
	s_barrier_signal -1
	s_barrier_wait -1
	global_inv scope:SCOPE_SE
	ds_load_b32 v9, v38
	ds_load_2addr_b32 v[18:19], v45 offset0:144 offset1:171
	ds_load_2addr_b32 v[28:29], v66 offset0:124 offset1:160
	;; [unrolled: 1-line block ×7, first 2 shown]
	v_add_nc_u32_e32 v39, 24, v45
	v_add_nc_u32_e32 v43, 0x300, v45
	s_and_saveexec_b32 s1, vcc_lo
	s_cbranch_execz .LBB0_25
; %bb.24:
	ds_load_2addr_b32 v[0:1], v66 offset0:7 offset1:151
	ds_load_b32 v8, v45 offset:1692
.LBB0_25:
	s_wait_alu 0xfffe
	s_or_b32 exec_lo, exec_lo, s1
	v_dual_add_f32 v66, v61, v54 :: v_dual_add_f32 v61, v40, v61
	v_sub_f32_e32 v55, v55, v57
	v_dual_add_f32 v57, v63, v62 :: v_dual_sub_f32 v58, v58, v60
	s_delay_alu instid0(VALU_DEP_3) | instskip(NEXT) | instid1(VALU_DEP_4)
	v_dual_fmac_f32 v40, -0.5, v66 :: v_dual_add_f32 v63, v16, v63
	v_add_f32_e32 v54, v61, v54
	s_delay_alu instid0(VALU_DEP_3) | instskip(SKIP_1) | instid1(VALU_DEP_4)
	v_fma_f32 v16, -0.5, v57, v16
	v_sub_f32_e32 v13, v13, v34
	v_dual_fmamk_f32 v57, v55, 0x3f5db3d7, v40 :: v_dual_add_f32 v60, v53, v37
	v_add_f32_e32 v53, v17, v53
	s_delay_alu instid0(VALU_DEP_4) | instskip(SKIP_2) | instid1(VALU_DEP_4)
	v_fmamk_f32 v61, v58, 0x3f5db3d7, v16
	v_fmac_f32_e32 v16, 0xbf5db3d7, v58
	v_add_f32_e32 v58, v65, v64
	v_dual_fmac_f32 v17, -0.5, v60 :: v_dual_add_f32 v34, v53, v37
	v_dual_add_f32 v37, v14, v65 :: v_dual_fmac_f32 v40, 0xbf5db3d7, v55
	v_add_f32_e32 v55, v63, v62
	s_delay_alu instid0(VALU_DEP_4) | instskip(SKIP_4) | instid1(VALU_DEP_4)
	v_fma_f32 v53, -0.5, v58, v14
	v_sub_f32_e32 v14, v56, v59
	v_fmamk_f32 v56, v13, 0x3f5db3d7, v17
	v_fmac_f32_e32 v17, 0xbf5db3d7, v13
	v_add_f32_e32 v37, v37, v64
	v_dual_add_f32 v13, v33, v30 :: v_dual_fmamk_f32 v58, v14, 0x3f5db3d7, v53
	v_sub_f32_e32 v35, v35, v52
	global_wb scope:SCOPE_SE
	s_wait_dscnt 0x0
	s_barrier_signal -1
	s_barrier_wait -1
	global_inv scope:SCOPE_SE
	ds_store_2addr_b32 v45, v54, v57 offset1:48
	ds_store_b32 v45, v40 offset:384
	ds_store_2addr_b32 v49, v55, v61 offset1:48
	ds_store_b32 v49, v16 offset:384
	v_add_nc_u32_e32 v16, 0x400, v50
	v_dual_fmac_f32 v53, 0xbf5db3d7, v14 :: v_dual_add_f32 v14, v41, v31
	v_add_f32_e32 v33, v15, v33
	v_fmac_f32_e32 v15, -0.5, v13
	v_dual_sub_f32 v13, v32, v36 :: v_dual_add_f32 v32, v10, v41
	s_delay_alu instid0(VALU_DEP_4) | instskip(NEXT) | instid1(VALU_DEP_4)
	v_fmac_f32_e32 v10, -0.5, v14
	v_add_f32_e32 v30, v33, v30
	s_delay_alu instid0(VALU_DEP_2)
	v_dual_fmamk_f32 v14, v35, 0x3f5db3d7, v10 :: v_dual_fmamk_f32 v33, v13, 0x3f5db3d7, v15
	v_fmac_f32_e32 v15, 0xbf5db3d7, v13
	v_add_f32_e32 v13, v32, v31
	v_fmac_f32_e32 v10, 0xbf5db3d7, v35
	ds_store_b32 v43, v56 offset:24
	ds_store_2addr_b32 v39, v34, v17 offset0:144 offset1:240
	ds_store_2addr_b32 v51, v37, v58 offset1:48
	ds_store_b32 v51, v53 offset:384
	ds_store_2addr_b32 v16, v30, v33 offset0:32 offset1:80
	ds_store_b32 v50, v15 offset:1536
	s_and_saveexec_b32 s1, vcc_lo
	s_cbranch_execz .LBB0_27
; %bb.26:
	v_add3_u32 v5, 0, v42, v5
	s_delay_alu instid0(VALU_DEP_1)
	v_add_nc_u32_e32 v15, 0x400, v5
	ds_store_2addr_b32 v15, v13, v14 offset0:32 offset1:80
	ds_store_b32 v5, v10 offset:1536
.LBB0_27:
	s_wait_alu 0xfffe
	s_or_b32 exec_lo, exec_lo, s1
	v_add_nc_u32_e32 v5, 0x200, v45
	v_add_nc_u32_e32 v15, 0x400, v45
	global_wb scope:SCOPE_SE
	s_wait_dscnt 0x0
	s_barrier_signal -1
	s_barrier_wait -1
	global_inv scope:SCOPE_SE
	ds_load_b32 v17, v38
	ds_load_2addr_b32 v[32:33], v45 offset0:144 offset1:171
	ds_load_2addr_b32 v[42:43], v5 offset0:124 offset1:160
	;; [unrolled: 1-line block ×7, first 2 shown]
	s_and_saveexec_b32 s1, vcc_lo
	s_cbranch_execz .LBB0_29
; %bb.28:
	ds_load_2addr_b32 v[13:14], v5 offset0:7 offset1:151
	ds_load_b32 v10, v45 offset:1692
.LBB0_29:
	s_wait_alu 0xfffe
	s_or_b32 exec_lo, exec_lo, s1
	s_and_saveexec_b32 s1, s0
	s_cbranch_execz .LBB0_32
; %bb.30:
	v_dual_mov_b32 v16, 0 :: v_dual_lshlrev_b32 v15, 1, v46
	s_delay_alu instid0(VALU_DEP_1) | instskip(SKIP_1) | instid1(VALU_DEP_1)
	v_lshlrev_b64_e32 v[49:50], 3, v[15:16]
	v_lshlrev_b32_e32 v15, 1, v48
	v_lshlrev_b64_e32 v[56:57], 3, v[15:16]
	s_delay_alu instid0(VALU_DEP_3) | instskip(SKIP_1) | instid1(VALU_DEP_4)
	v_add_co_u32 v48, s0, s4, v49
	s_wait_alu 0xf1ff
	v_add_co_ci_u32_e64 v49, s0, s5, v50, s0
	v_lshl_add_u32 v15, v4, 1, 0x6c
	s_clause 0x1
	global_load_b128 v[48:51], v[48:49], off offset:1128
	global_load_b128 v[52:55], v[2:3], off offset:1128
	v_add_co_u32 v2, s0, s4, v56
	s_wait_alu 0xf1ff
	v_add_co_ci_u32_e64 v3, s0, s5, v57, s0
	global_load_b128 v[56:59], v[2:3], off offset:1128
	v_lshlrev_b64_e32 v[2:3], 3, v[15:16]
	v_lshlrev_b32_e32 v15, 1, v47
	v_mov_b32_e32 v5, v16
	s_delay_alu instid0(VALU_DEP_3) | instskip(SKIP_1) | instid1(VALU_DEP_4)
	v_add_co_u32 v2, s0, s4, v2
	s_wait_alu 0xf1ff
	v_add_co_ci_u32_e64 v3, s0, s5, v3, s0
	global_load_b128 v[60:63], v[2:3], off offset:1128
	v_lshlrev_b64_e32 v[2:3], 3, v[15:16]
	s_delay_alu instid0(VALU_DEP_1) | instskip(SKIP_1) | instid1(VALU_DEP_2)
	v_add_co_u32 v2, s0, s4, v2
	s_wait_alu 0xf1ff
	v_add_co_ci_u32_e64 v3, s0, s5, v3, s0
	v_add_co_u32 v45, s0, s8, v6
	s_wait_alu 0xf1ff
	v_add_co_ci_u32_e64 v7, s0, s9, v7, s0
	global_load_b128 v[64:67], v[2:3], off offset:1128
	v_mul_hi_u32 v2, 0x38e38e39, v46
	s_delay_alu instid0(VALU_DEP_1) | instskip(SKIP_1) | instid1(VALU_DEP_2)
	v_lshrrev_b32_e32 v15, 5, v2
	v_lshlrev_b64_e32 v[2:3], 3, v[4:5]
	v_mul_u32_u24_e32 v15, 0x120, v15
	s_delay_alu instid0(VALU_DEP_2) | instskip(SKIP_1) | instid1(VALU_DEP_3)
	v_add_co_u32 v2, s0, v45, v2
	s_wait_alu 0xf1ff
	v_add_co_ci_u32_e64 v3, s0, v7, v3, s0
	s_delay_alu instid0(VALU_DEP_3) | instskip(NEXT) | instid1(VALU_DEP_1)
	v_lshlrev_b64_e32 v[5:6], 3, v[15:16]
	v_add_co_u32 v5, s0, v2, v5
	s_wait_alu 0xf1ff
	s_delay_alu instid0(VALU_DEP_2)
	v_add_co_ci_u32_e64 v6, s0, v3, v6, s0
	s_wait_loadcnt 0x4
	v_mul_f32_e32 v7, v28, v49
	v_mul_f32_e32 v15, v27, v51
	s_wait_dscnt 0x0
	v_dual_mul_f32 v46, v41, v51 :: v_dual_mul_f32 v45, v42, v49
	s_delay_alu instid0(VALU_DEP_3) | instskip(SKIP_2) | instid1(VALU_DEP_3)
	v_fma_f32 v7, v42, v48, -v7
	s_wait_loadcnt 0x3
	v_mul_f32_e32 v47, v18, v53
	v_dual_mul_f32 v51, v32, v53 :: v_dual_fmac_f32 v46, v27, v50
	s_wait_loadcnt 0x2
	v_mul_f32_e32 v42, v40, v59
	v_fmac_f32_e32 v45, v28, v48
	v_fma_f32 v32, v32, v52, -v47
	v_fmac_f32_e32 v51, v18, v52
	v_mul_f32_e32 v53, v43, v55
	v_dual_mul_f32 v27, v25, v57 :: v_dual_mul_f32 v28, v26, v59
	v_fmac_f32_e32 v42, v26, v58
	s_delay_alu instid0(VALU_DEP_2)
	v_fma_f32 v40, v40, v58, -v28
	s_wait_loadcnt 0x1
	v_mul_f32_e32 v52, v38, v61
	v_fma_f32 v15, v41, v50, -v15
	v_mul_f32_e32 v41, v39, v57
	v_fma_f32 v39, v39, v56, -v27
	v_fmac_f32_e32 v53, v29, v54
	v_mul_f32_e32 v50, v21, v63
	v_add_f32_e32 v18, v7, v15
	v_dual_sub_f32 v48, v7, v15 :: v_dual_add_f32 v47, v45, v46
	v_fmac_f32_e32 v41, v25, v56
	v_fmac_f32_e32 v52, v24, v60
	s_delay_alu instid0(VALU_DEP_4) | instskip(SKIP_4) | instid1(VALU_DEP_3)
	v_fma_f32 v26, -0.5, v18, v37
	v_add_f32_e32 v7, v37, v7
	v_fma_f32 v25, -0.5, v47, v23
	s_wait_loadcnt 0x0
	v_mul_f32_e32 v59, v20, v67
	v_add_f32_e32 v28, v7, v15
	v_mul_f32_e32 v49, v29, v55
	v_sub_f32_e32 v29, v45, v46
	v_add_f32_e32 v45, v23, v45
	v_fmamk_f32 v37, v48, 0x3f5db3d7, v25
	v_fmac_f32_e32 v25, 0xbf5db3d7, v48
	s_delay_alu instid0(VALU_DEP_3)
	v_dual_add_f32 v27, v45, v46 :: v_dual_sub_f32 v46, v39, v40
	v_sub_f32_e32 v56, v51, v53
	v_fma_f32 v43, v43, v54, -v49
	v_mul_f32_e32 v49, v24, v61
	v_mul_f32_e32 v61, v34, v67
	;; [unrolled: 1-line block ×3, first 2 shown]
	s_delay_alu instid0(VALU_DEP_4)
	v_add_f32_e32 v55, v32, v43
	v_sub_f32_e32 v58, v32, v43
	v_add_f32_e32 v32, v17, v32
	v_fma_f32 v47, v38, v60, -v49
	v_mul_f32_e32 v60, v33, v65
	v_fma_f32 v18, -0.5, v55, v17
	s_delay_alu instid0(VALU_DEP_4) | instskip(SKIP_2) | instid1(VALU_DEP_4)
	v_dual_add_f32 v57, v51, v53 :: v_dual_add_f32 v24, v32, v43
	v_sub_f32_e32 v15, v41, v42
	v_fmac_f32_e32 v61, v20, v66
	v_fmamk_f32 v20, v56, 0xbf5db3d7, v18
	v_dual_fmac_f32 v18, 0x3f5db3d7, v56 :: v_dual_add_f32 v45, v41, v42
	v_fma_f32 v49, v35, v62, -v50
	v_dual_fmac_f32 v60, v19, v64 :: v_dual_add_f32 v41, v22, v41
	v_fmac_f32_e32 v54, v21, v62
	s_delay_alu instid0(VALU_DEP_4) | instskip(SKIP_1) | instid1(VALU_DEP_4)
	v_fma_f32 v35, -0.5, v45, v22
	v_add_f32_e32 v7, v39, v40
	v_dual_add_f32 v48, v11, v60 :: v_dual_add_f32 v21, v41, v42
	s_delay_alu instid0(VALU_DEP_3) | instskip(SKIP_1) | instid1(VALU_DEP_4)
	v_dual_add_f32 v41, v31, v47 :: v_dual_fmamk_f32 v32, v46, 0x3f5db3d7, v35
	v_add_f32_e32 v39, v36, v39
	v_fma_f32 v36, -0.5, v7, v36
	v_add_f32_e32 v7, v47, v49
	s_delay_alu instid0(VALU_DEP_4) | instskip(NEXT) | instid1(VALU_DEP_4)
	v_add_f32_e32 v42, v41, v49
	v_dual_add_f32 v51, v9, v51 :: v_dual_add_f32 v22, v39, v40
	v_mul_f32_e32 v50, v19, v65
	v_fma_f32 v17, -0.5, v57, v9
	v_sub_f32_e32 v9, v52, v54
	v_fma_f32 v40, -0.5, v7, v31
	v_fmamk_f32 v38, v29, 0xbf5db3d7, v26
	v_dual_fmac_f32 v26, 0x3f5db3d7, v29 :: v_dual_add_f32 v29, v52, v54
	v_sub_f32_e32 v43, v47, v49
	v_fma_f32 v47, v33, v64, -v50
	v_dual_fmac_f32 v35, 0xbf5db3d7, v46 :: v_dual_fmamk_f32 v46, v9, 0xbf5db3d7, v40
	v_fma_f32 v34, v34, v66, -v59
	v_fma_f32 v39, -0.5, v29, v12
	v_add_f32_e32 v29, v60, v61
	v_add_f32_e32 v45, v12, v52
	v_fmamk_f32 v33, v15, 0xbf5db3d7, v36
	v_add_f32_e32 v7, v47, v34
	v_sub_f32_e32 v31, v47, v34
	v_add_f32_e32 v47, v30, v47
	v_dual_fmac_f32 v36, 0x3f5db3d7, v15 :: v_dual_sub_f32 v15, v60, v61
	s_delay_alu instid0(VALU_DEP_4)
	v_fma_f32 v12, -0.5, v7, v30
	v_add_f32_e32 v23, v51, v53
	v_fma_f32 v11, -0.5, v29, v11
	v_dual_add_f32 v30, v47, v34 :: v_dual_add_f32 v29, v48, v61
	v_add_f32_e32 v41, v45, v54
	v_fmamk_f32 v19, v58, 0x3f5db3d7, v17
	v_fmac_f32_e32 v17, 0xbf5db3d7, v58
	v_dual_fmamk_f32 v45, v43, 0x3f5db3d7, v39 :: v_dual_fmac_f32 v40, 0x3f5db3d7, v9
	v_dual_fmac_f32 v39, 0xbf5db3d7, v43 :: v_dual_fmamk_f32 v48, v15, 0xbf5db3d7, v12
	v_dual_fmac_f32 v12, 0x3f5db3d7, v15 :: v_dual_fmamk_f32 v47, v31, 0x3f5db3d7, v11
	v_fmac_f32_e32 v11, 0xbf5db3d7, v31
	s_clause 0xe
	global_store_b64 v[2:3], v[23:24], off
	global_store_b64 v[2:3], v[29:30], off offset:216
	global_store_b64 v[2:3], v[41:42], off offset:432
	;; [unrolled: 1-line block ×14, first 2 shown]
	s_and_b32 exec_lo, exec_lo, vcc_lo
	s_cbranch_execz .LBB0_32
; %bb.31:
	v_add_nc_u32_e32 v4, -9, v4
	s_delay_alu instid0(VALU_DEP_1) | instskip(NEXT) | instid1(VALU_DEP_1)
	v_cndmask_b32_e32 v4, v4, v44, vcc_lo
	v_lshlrev_b32_e32 v15, 1, v4
	s_delay_alu instid0(VALU_DEP_1) | instskip(NEXT) | instid1(VALU_DEP_1)
	v_lshlrev_b64_e32 v[4:5], 3, v[15:16]
	v_add_co_u32 v4, vcc_lo, s4, v4
	s_wait_alu 0xfffd
	s_delay_alu instid0(VALU_DEP_2) | instskip(SKIP_4) | instid1(VALU_DEP_2)
	v_add_co_ci_u32_e32 v5, vcc_lo, s5, v5, vcc_lo
	global_load_b128 v[4:7], v[4:5], off offset:1128
	s_wait_loadcnt 0x0
	v_mul_f32_e32 v9, v1, v5
	v_mul_f32_e32 v5, v14, v5
	v_fma_f32 v9, v14, v4, -v9
	v_mul_f32_e32 v11, v8, v7
	v_mul_f32_e32 v7, v10, v7
	s_delay_alu instid0(VALU_DEP_4) | instskip(NEXT) | instid1(VALU_DEP_2)
	v_fmac_f32_e32 v5, v1, v4
	v_dual_fmac_f32 v7, v8, v6 :: v_dual_add_f32 v8, v13, v9
	s_delay_alu instid0(VALU_DEP_4) | instskip(NEXT) | instid1(VALU_DEP_2)
	v_fma_f32 v10, v10, v6, -v11
	v_add_f32_e32 v4, v5, v7
	s_delay_alu instid0(VALU_DEP_2) | instskip(SKIP_1) | instid1(VALU_DEP_2)
	v_add_f32_e32 v1, v9, v10
	v_sub_f32_e32 v9, v9, v10
	v_fmac_f32_e32 v13, -0.5, v1
	s_delay_alu instid0(VALU_DEP_4) | instskip(NEXT) | instid1(VALU_DEP_1)
	v_dual_add_f32 v1, v0, v5 :: v_dual_fmac_f32 v0, -0.5, v4
	v_fmamk_f32 v4, v9, 0xbf5db3d7, v0
	v_fmac_f32_e32 v0, 0x3f5db3d7, v9
	v_sub_f32_e32 v6, v5, v7
	s_delay_alu instid0(VALU_DEP_1) | instskip(SKIP_2) | instid1(VALU_DEP_2)
	v_fmamk_f32 v5, v6, 0x3f5db3d7, v13
	v_dual_fmac_f32 v13, 0xbf5db3d7, v6 :: v_dual_add_f32 v6, v1, v7
	v_add_f32_e32 v7, v8, v10
	v_mov_b32_e32 v1, v13
	s_clause 0x2
	global_store_b64 v[2:3], v[6:7], off offset:1080
	global_store_b64 v[2:3], v[4:5], off offset:2232
	;; [unrolled: 1-line block ×3, first 2 shown]
.LBB0_32:
	s_nop 0
	s_sendmsg sendmsg(MSG_DEALLOC_VGPRS)
	s_endpgm
	.section	.rodata,"a",@progbits
	.p2align	6, 0x0
	.amdhsa_kernel fft_rtc_back_len432_factors_3_16_3_3_wgs_54_tpt_27_halfLds_sp_ip_CI_unitstride_sbrr_dirReg
		.amdhsa_group_segment_fixed_size 0
		.amdhsa_private_segment_fixed_size 0
		.amdhsa_kernarg_size 88
		.amdhsa_user_sgpr_count 2
		.amdhsa_user_sgpr_dispatch_ptr 0
		.amdhsa_user_sgpr_queue_ptr 0
		.amdhsa_user_sgpr_kernarg_segment_ptr 1
		.amdhsa_user_sgpr_dispatch_id 0
		.amdhsa_user_sgpr_private_segment_size 0
		.amdhsa_wavefront_size32 1
		.amdhsa_uses_dynamic_stack 0
		.amdhsa_enable_private_segment 0
		.amdhsa_system_sgpr_workgroup_id_x 1
		.amdhsa_system_sgpr_workgroup_id_y 0
		.amdhsa_system_sgpr_workgroup_id_z 0
		.amdhsa_system_sgpr_workgroup_info 0
		.amdhsa_system_vgpr_workitem_id 0
		.amdhsa_next_free_vgpr 87
		.amdhsa_next_free_sgpr 32
		.amdhsa_reserve_vcc 1
		.amdhsa_float_round_mode_32 0
		.amdhsa_float_round_mode_16_64 0
		.amdhsa_float_denorm_mode_32 3
		.amdhsa_float_denorm_mode_16_64 3
		.amdhsa_fp16_overflow 0
		.amdhsa_workgroup_processor_mode 1
		.amdhsa_memory_ordered 1
		.amdhsa_forward_progress 0
		.amdhsa_round_robin_scheduling 0
		.amdhsa_exception_fp_ieee_invalid_op 0
		.amdhsa_exception_fp_denorm_src 0
		.amdhsa_exception_fp_ieee_div_zero 0
		.amdhsa_exception_fp_ieee_overflow 0
		.amdhsa_exception_fp_ieee_underflow 0
		.amdhsa_exception_fp_ieee_inexact 0
		.amdhsa_exception_int_div_zero 0
	.end_amdhsa_kernel
	.text
.Lfunc_end0:
	.size	fft_rtc_back_len432_factors_3_16_3_3_wgs_54_tpt_27_halfLds_sp_ip_CI_unitstride_sbrr_dirReg, .Lfunc_end0-fft_rtc_back_len432_factors_3_16_3_3_wgs_54_tpt_27_halfLds_sp_ip_CI_unitstride_sbrr_dirReg
                                        ; -- End function
	.section	.AMDGPU.csdata,"",@progbits
; Kernel info:
; codeLenInByte = 8072
; NumSgprs: 34
; NumVgprs: 87
; ScratchSize: 0
; MemoryBound: 0
; FloatMode: 240
; IeeeMode: 1
; LDSByteSize: 0 bytes/workgroup (compile time only)
; SGPRBlocks: 4
; VGPRBlocks: 10
; NumSGPRsForWavesPerEU: 34
; NumVGPRsForWavesPerEU: 87
; Occupancy: 16
; WaveLimiterHint : 1
; COMPUTE_PGM_RSRC2:SCRATCH_EN: 0
; COMPUTE_PGM_RSRC2:USER_SGPR: 2
; COMPUTE_PGM_RSRC2:TRAP_HANDLER: 0
; COMPUTE_PGM_RSRC2:TGID_X_EN: 1
; COMPUTE_PGM_RSRC2:TGID_Y_EN: 0
; COMPUTE_PGM_RSRC2:TGID_Z_EN: 0
; COMPUTE_PGM_RSRC2:TIDIG_COMP_CNT: 0
	.text
	.p2alignl 7, 3214868480
	.fill 96, 4, 3214868480
	.type	__hip_cuid_a58f537833c5e23c,@object ; @__hip_cuid_a58f537833c5e23c
	.section	.bss,"aw",@nobits
	.globl	__hip_cuid_a58f537833c5e23c
__hip_cuid_a58f537833c5e23c:
	.byte	0                               ; 0x0
	.size	__hip_cuid_a58f537833c5e23c, 1

	.ident	"AMD clang version 19.0.0git (https://github.com/RadeonOpenCompute/llvm-project roc-6.4.0 25133 c7fe45cf4b819c5991fe208aaa96edf142730f1d)"
	.section	".note.GNU-stack","",@progbits
	.addrsig
	.addrsig_sym __hip_cuid_a58f537833c5e23c
	.amdgpu_metadata
---
amdhsa.kernels:
  - .args:
      - .actual_access:  read_only
        .address_space:  global
        .offset:         0
        .size:           8
        .value_kind:     global_buffer
      - .offset:         8
        .size:           8
        .value_kind:     by_value
      - .actual_access:  read_only
        .address_space:  global
        .offset:         16
        .size:           8
        .value_kind:     global_buffer
      - .actual_access:  read_only
        .address_space:  global
        .offset:         24
        .size:           8
        .value_kind:     global_buffer
      - .offset:         32
        .size:           8
        .value_kind:     by_value
      - .actual_access:  read_only
        .address_space:  global
        .offset:         40
        .size:           8
        .value_kind:     global_buffer
      - .actual_access:  read_only
        .address_space:  global
        .offset:         48
        .size:           8
        .value_kind:     global_buffer
      - .offset:         56
        .size:           4
        .value_kind:     by_value
      - .actual_access:  read_only
        .address_space:  global
        .offset:         64
        .size:           8
        .value_kind:     global_buffer
      - .actual_access:  read_only
        .address_space:  global
        .offset:         72
        .size:           8
        .value_kind:     global_buffer
      - .address_space:  global
        .offset:         80
        .size:           8
        .value_kind:     global_buffer
    .group_segment_fixed_size: 0
    .kernarg_segment_align: 8
    .kernarg_segment_size: 88
    .language:       OpenCL C
    .language_version:
      - 2
      - 0
    .max_flat_workgroup_size: 54
    .name:           fft_rtc_back_len432_factors_3_16_3_3_wgs_54_tpt_27_halfLds_sp_ip_CI_unitstride_sbrr_dirReg
    .private_segment_fixed_size: 0
    .sgpr_count:     34
    .sgpr_spill_count: 0
    .symbol:         fft_rtc_back_len432_factors_3_16_3_3_wgs_54_tpt_27_halfLds_sp_ip_CI_unitstride_sbrr_dirReg.kd
    .uniform_work_group_size: 1
    .uses_dynamic_stack: false
    .vgpr_count:     87
    .vgpr_spill_count: 0
    .wavefront_size: 32
    .workgroup_processor_mode: 1
amdhsa.target:   amdgcn-amd-amdhsa--gfx1201
amdhsa.version:
  - 1
  - 2
...

	.end_amdgpu_metadata
